;; amdgpu-corpus repo=ROCm/rocSOLVER kind=compiled arch=gfx1250 opt=O3
	.amdgcn_target "amdgcn-amd-amdhsa--gfx1250"
	.amdhsa_code_object_version 6
	.section	.text._ZN9rocsolver6v33100L12laswp_kernelIfiPfEEvT0_T1_lS3_S3_lS3_S3_PKS3_lS3_l,"axG",@progbits,_ZN9rocsolver6v33100L12laswp_kernelIfiPfEEvT0_T1_lS3_S3_lS3_S3_PKS3_lS3_l,comdat
	.globl	_ZN9rocsolver6v33100L12laswp_kernelIfiPfEEvT0_T1_lS3_S3_lS3_S3_PKS3_lS3_l ; -- Begin function _ZN9rocsolver6v33100L12laswp_kernelIfiPfEEvT0_T1_lS3_S3_lS3_S3_PKS3_lS3_l
	.p2align	8
	.type	_ZN9rocsolver6v33100L12laswp_kernelIfiPfEEvT0_T1_lS3_S3_lS3_S3_PKS3_lS3_l,@function
_ZN9rocsolver6v33100L12laswp_kernelIfiPfEEvT0_T1_lS3_S3_lS3_S3_PKS3_lS3_l: ; @_ZN9rocsolver6v33100L12laswp_kernelIfiPfEEvT0_T1_lS3_S3_lS3_S3_PKS3_lS3_l
; %bb.0:
	s_clause 0x1
	s_load_b32 s2, s[0:1], 0x5c
	s_load_b32 s3, s[0:1], 0x0
	s_bfe_u32 s4, ttmp6, 0x4000c
	s_and_b32 s5, ttmp6, 15
	s_add_co_i32 s4, s4, 1
	s_getreg_b32 s16, hwreg(HW_REG_IB_STS2, 6, 4)
	s_mul_i32 s4, ttmp9, s4
	s_delay_alu instid0(SALU_CYCLE_1) | instskip(SKIP_4) | instid1(SALU_CYCLE_1)
	s_add_co_i32 s5, s5, s4
	s_wait_kmcnt 0x0
	s_and_b32 s2, s2, 0xffff
	s_cmp_eq_u32 s16, 0
	s_cselect_b32 s4, ttmp9, s5
	v_mad_u32 v0, s4, s2, v0
	s_mov_b32 s2, exec_lo
	s_delay_alu instid0(VALU_DEP_1)
	v_cmpx_gt_i32_e64 s3, v0
	s_cbranch_execz .LBB0_10
; %bb.1:
	s_clause 0x1
	s_load_b32 s15, s[0:1], 0x40
	s_load_b64 s[2:3], s[0:1], 0x28
	s_wait_kmcnt 0x0
	s_cmp_gt_i32 s15, -1
	s_cbranch_scc0 .LBB0_3
; %bb.2:
	s_add_co_i32 s12, s3, 1
	s_mov_b32 s13, 1
	s_mov_b32 s14, s2
	s_cbranch_execz .LBB0_4
	s_branch .LBB0_5
.LBB0_3:
                                        ; implicit-def: $sgpr12
	s_mov_b32 s13, 1
	s_mov_b32 s14, s2
.LBB0_4:
	s_mov_b32 s13, -1
	s_add_co_i32 s12, s2, -1
	s_sub_co_i32 s15, 0, s15
	s_mov_b32 s14, s3
.LBB0_5:
	s_delay_alu instid0(SALU_CYCLE_1)
	s_cmp_eq_u32 s14, s12
	s_cbranch_scc1 .LBB0_10
; %bb.6:
	s_clause 0x2
	s_load_b256 s[4:11], s[0:1], 0x8
	s_load_b64 s[18:19], s[0:1], 0x48
	s_load_b128 s[20:23], s[0:1], 0x30
	s_wait_xcnt 0x0
	s_bfe_u32 s0, ttmp6, 0x40010
	s_bfe_u32 s1, ttmp6, 0x40004
	s_add_co_i32 s0, s0, 1
	s_delay_alu instid0(SALU_CYCLE_1) | instskip(NEXT) | instid1(SALU_CYCLE_1)
	s_mul_i32 s0, ttmp7, s0
	s_add_co_i32 s1, s1, s0
	s_cmp_eq_u32 s16, 0
	s_cselect_b32 s0, ttmp7, s1
	s_add_co_i32 s3, s14, -1
	s_ashr_i32 s1, s0, 31
	s_wait_kmcnt 0x0
	v_mul_lo_u32 v0, v0, s9
	s_mul_u64 s[16:17], s[18:19], s[0:1]
	s_mul_u64 s[0:1], s[10:11], s[0:1]
	s_lshl_b64 s[16:17], s[16:17], 2
	s_lshl_b64 s[10:11], s[0:1], 2
	s_add_nc_u64 s[16:17], s[20:21], s[16:17]
	s_lshl_b64 s[18:19], s[22:23], 2
	s_add_nc_u64 s[4:5], s[4:5], s[10:11]
	;; [unrolled: 2-line block ×3, first 2 shown]
	s_add_nc_u64 s[4:5], s[4:5], s[6:7]
	v_mad_u32 v1, s8, s3, v0
	s_sub_co_i32 s3, s14, s2
	s_mul_i32 s6, s13, s8
	s_mul_i32 s3, s15, s3
	;; [unrolled: 1-line block ×3, first 2 shown]
	s_add_co_i32 s2, s2, s3
	s_branch .LBB0_8
.LBB0_7:                                ;   in Loop: Header=BB0_8 Depth=1
	s_wait_xcnt 0x0
	v_add_nc_u32_e32 v1, s6, v1
	s_add_co_i32 s14, s14, s13
	s_add_co_i32 s2, s2, s7
	s_cmp_lg_u32 s12, s14
	s_cbranch_scc0 .LBB0_10
.LBB0_8:                                ; =>This Inner Loop Header: Depth=1
	s_ashr_i32 s3, s2, 31
	s_delay_alu instid0(SALU_CYCLE_1) | instskip(NEXT) | instid1(SALU_CYCLE_1)
	s_lshl_b64 s[10:11], s[2:3], 2
	s_add_nc_u64 s[10:11], s[0:1], s[10:11]
	s_delay_alu instid0(SALU_CYCLE_1)
	s_add_nc_u64 s[10:11], s[10:11], -4
	s_load_b32 s3, s[10:11], 0x0
	s_wait_kmcnt 0x0
	s_cmp_eq_u32 s14, s3
	s_cbranch_scc1 .LBB0_7
; %bb.9:                                ;   in Loop: Header=BB0_8 Depth=1
	s_add_co_i32 s3, s3, -1
	s_delay_alu instid0(SALU_CYCLE_1)
	v_mad_u32 v2, s3, s8, v0
	s_clause 0x1
	global_load_b32 v3, v2, s[4:5] scale_offset
	global_load_b32 v4, v1, s[4:5] scale_offset
	s_wait_loadcnt 0x1
	global_store_b32 v1, v3, s[4:5] scale_offset
	s_wait_loadcnt 0x0
	global_store_b32 v2, v4, s[4:5] scale_offset
	s_branch .LBB0_7
.LBB0_10:
	s_endpgm
	.section	.rodata,"a",@progbits
	.p2align	6, 0x0
	.amdhsa_kernel _ZN9rocsolver6v33100L12laswp_kernelIfiPfEEvT0_T1_lS3_S3_lS3_S3_PKS3_lS3_l
		.amdhsa_group_segment_fixed_size 0
		.amdhsa_private_segment_fixed_size 0
		.amdhsa_kernarg_size 336
		.amdhsa_user_sgpr_count 2
		.amdhsa_user_sgpr_dispatch_ptr 0
		.amdhsa_user_sgpr_queue_ptr 0
		.amdhsa_user_sgpr_kernarg_segment_ptr 1
		.amdhsa_user_sgpr_dispatch_id 0
		.amdhsa_user_sgpr_kernarg_preload_length 0
		.amdhsa_user_sgpr_kernarg_preload_offset 0
		.amdhsa_user_sgpr_private_segment_size 0
		.amdhsa_wavefront_size32 1
		.amdhsa_uses_dynamic_stack 0
		.amdhsa_enable_private_segment 0
		.amdhsa_system_sgpr_workgroup_id_x 1
		.amdhsa_system_sgpr_workgroup_id_y 1
		.amdhsa_system_sgpr_workgroup_id_z 0
		.amdhsa_system_sgpr_workgroup_info 0
		.amdhsa_system_vgpr_workitem_id 0
		.amdhsa_next_free_vgpr 5
		.amdhsa_next_free_sgpr 24
		.amdhsa_named_barrier_count 0
		.amdhsa_reserve_vcc 0
		.amdhsa_float_round_mode_32 0
		.amdhsa_float_round_mode_16_64 0
		.amdhsa_float_denorm_mode_32 3
		.amdhsa_float_denorm_mode_16_64 3
		.amdhsa_fp16_overflow 0
		.amdhsa_memory_ordered 1
		.amdhsa_forward_progress 1
		.amdhsa_inst_pref_size 4
		.amdhsa_round_robin_scheduling 0
		.amdhsa_exception_fp_ieee_invalid_op 0
		.amdhsa_exception_fp_denorm_src 0
		.amdhsa_exception_fp_ieee_div_zero 0
		.amdhsa_exception_fp_ieee_overflow 0
		.amdhsa_exception_fp_ieee_underflow 0
		.amdhsa_exception_fp_ieee_inexact 0
		.amdhsa_exception_int_div_zero 0
	.end_amdhsa_kernel
	.section	.text._ZN9rocsolver6v33100L12laswp_kernelIfiPfEEvT0_T1_lS3_S3_lS3_S3_PKS3_lS3_l,"axG",@progbits,_ZN9rocsolver6v33100L12laswp_kernelIfiPfEEvT0_T1_lS3_S3_lS3_S3_PKS3_lS3_l,comdat
.Lfunc_end0:
	.size	_ZN9rocsolver6v33100L12laswp_kernelIfiPfEEvT0_T1_lS3_S3_lS3_S3_PKS3_lS3_l, .Lfunc_end0-_ZN9rocsolver6v33100L12laswp_kernelIfiPfEEvT0_T1_lS3_S3_lS3_S3_PKS3_lS3_l
                                        ; -- End function
	.set _ZN9rocsolver6v33100L12laswp_kernelIfiPfEEvT0_T1_lS3_S3_lS3_S3_PKS3_lS3_l.num_vgpr, 5
	.set _ZN9rocsolver6v33100L12laswp_kernelIfiPfEEvT0_T1_lS3_S3_lS3_S3_PKS3_lS3_l.num_agpr, 0
	.set _ZN9rocsolver6v33100L12laswp_kernelIfiPfEEvT0_T1_lS3_S3_lS3_S3_PKS3_lS3_l.numbered_sgpr, 24
	.set _ZN9rocsolver6v33100L12laswp_kernelIfiPfEEvT0_T1_lS3_S3_lS3_S3_PKS3_lS3_l.num_named_barrier, 0
	.set _ZN9rocsolver6v33100L12laswp_kernelIfiPfEEvT0_T1_lS3_S3_lS3_S3_PKS3_lS3_l.private_seg_size, 0
	.set _ZN9rocsolver6v33100L12laswp_kernelIfiPfEEvT0_T1_lS3_S3_lS3_S3_PKS3_lS3_l.uses_vcc, 0
	.set _ZN9rocsolver6v33100L12laswp_kernelIfiPfEEvT0_T1_lS3_S3_lS3_S3_PKS3_lS3_l.uses_flat_scratch, 0
	.set _ZN9rocsolver6v33100L12laswp_kernelIfiPfEEvT0_T1_lS3_S3_lS3_S3_PKS3_lS3_l.has_dyn_sized_stack, 0
	.set _ZN9rocsolver6v33100L12laswp_kernelIfiPfEEvT0_T1_lS3_S3_lS3_S3_PKS3_lS3_l.has_recursion, 0
	.set _ZN9rocsolver6v33100L12laswp_kernelIfiPfEEvT0_T1_lS3_S3_lS3_S3_PKS3_lS3_l.has_indirect_call, 0
	.section	.AMDGPU.csdata,"",@progbits
; Kernel info:
; codeLenInByte = 504
; TotalNumSgprs: 24
; NumVgprs: 5
; ScratchSize: 0
; MemoryBound: 0
; FloatMode: 240
; IeeeMode: 1
; LDSByteSize: 0 bytes/workgroup (compile time only)
; SGPRBlocks: 0
; VGPRBlocks: 0
; NumSGPRsForWavesPerEU: 24
; NumVGPRsForWavesPerEU: 5
; NamedBarCnt: 0
; Occupancy: 16
; WaveLimiterHint : 1
; COMPUTE_PGM_RSRC2:SCRATCH_EN: 0
; COMPUTE_PGM_RSRC2:USER_SGPR: 2
; COMPUTE_PGM_RSRC2:TRAP_HANDLER: 0
; COMPUTE_PGM_RSRC2:TGID_X_EN: 1
; COMPUTE_PGM_RSRC2:TGID_Y_EN: 1
; COMPUTE_PGM_RSRC2:TGID_Z_EN: 0
; COMPUTE_PGM_RSRC2:TIDIG_COMP_CNT: 0
	.section	.text._ZN9rocsolver6v33100L12laswp_kernelIdiPdEEvT0_T1_lS3_S3_lS3_S3_PKS3_lS3_l,"axG",@progbits,_ZN9rocsolver6v33100L12laswp_kernelIdiPdEEvT0_T1_lS3_S3_lS3_S3_PKS3_lS3_l,comdat
	.globl	_ZN9rocsolver6v33100L12laswp_kernelIdiPdEEvT0_T1_lS3_S3_lS3_S3_PKS3_lS3_l ; -- Begin function _ZN9rocsolver6v33100L12laswp_kernelIdiPdEEvT0_T1_lS3_S3_lS3_S3_PKS3_lS3_l
	.p2align	8
	.type	_ZN9rocsolver6v33100L12laswp_kernelIdiPdEEvT0_T1_lS3_S3_lS3_S3_PKS3_lS3_l,@function
_ZN9rocsolver6v33100L12laswp_kernelIdiPdEEvT0_T1_lS3_S3_lS3_S3_PKS3_lS3_l: ; @_ZN9rocsolver6v33100L12laswp_kernelIdiPdEEvT0_T1_lS3_S3_lS3_S3_PKS3_lS3_l
; %bb.0:
	s_clause 0x1
	s_load_b32 s2, s[0:1], 0x5c
	s_load_b32 s3, s[0:1], 0x0
	s_bfe_u32 s4, ttmp6, 0x4000c
	s_and_b32 s5, ttmp6, 15
	s_add_co_i32 s4, s4, 1
	s_getreg_b32 s16, hwreg(HW_REG_IB_STS2, 6, 4)
	s_mul_i32 s4, ttmp9, s4
	s_delay_alu instid0(SALU_CYCLE_1) | instskip(SKIP_4) | instid1(SALU_CYCLE_1)
	s_add_co_i32 s5, s5, s4
	s_wait_kmcnt 0x0
	s_and_b32 s2, s2, 0xffff
	s_cmp_eq_u32 s16, 0
	s_cselect_b32 s4, ttmp9, s5
	v_mad_u32 v0, s4, s2, v0
	s_mov_b32 s2, exec_lo
	s_delay_alu instid0(VALU_DEP_1)
	v_cmpx_gt_i32_e64 s3, v0
	s_cbranch_execz .LBB1_10
; %bb.1:
	s_clause 0x1
	s_load_b32 s15, s[0:1], 0x40
	s_load_b64 s[2:3], s[0:1], 0x28
	s_wait_kmcnt 0x0
	s_cmp_gt_i32 s15, -1
	s_cbranch_scc0 .LBB1_3
; %bb.2:
	s_add_co_i32 s12, s3, 1
	s_mov_b32 s13, 1
	s_mov_b32 s14, s2
	s_cbranch_execz .LBB1_4
	s_branch .LBB1_5
.LBB1_3:
                                        ; implicit-def: $sgpr12
	s_mov_b32 s13, 1
	s_mov_b32 s14, s2
.LBB1_4:
	s_mov_b32 s13, -1
	s_add_co_i32 s12, s2, -1
	s_sub_co_i32 s15, 0, s15
	s_mov_b32 s14, s3
.LBB1_5:
	s_delay_alu instid0(SALU_CYCLE_1)
	s_cmp_eq_u32 s14, s12
	s_cbranch_scc1 .LBB1_10
; %bb.6:
	s_clause 0x2
	s_load_b256 s[4:11], s[0:1], 0x8
	s_load_b64 s[18:19], s[0:1], 0x48
	s_load_b128 s[20:23], s[0:1], 0x30
	s_wait_xcnt 0x0
	s_bfe_u32 s0, ttmp6, 0x40010
	s_bfe_u32 s1, ttmp6, 0x40004
	s_add_co_i32 s0, s0, 1
	s_delay_alu instid0(SALU_CYCLE_1) | instskip(NEXT) | instid1(SALU_CYCLE_1)
	s_mul_i32 s0, ttmp7, s0
	s_add_co_i32 s1, s1, s0
	s_cmp_eq_u32 s16, 0
	s_cselect_b32 s0, ttmp7, s1
	s_add_co_i32 s3, s14, -1
	s_ashr_i32 s1, s0, 31
	s_wait_kmcnt 0x0
	v_mul_lo_u32 v0, v0, s9
	s_mul_u64 s[16:17], s[18:19], s[0:1]
	s_mul_u64 s[0:1], s[10:11], s[0:1]
	s_lshl_b64 s[16:17], s[16:17], 2
	s_lshl_b64 s[10:11], s[0:1], 3
	s_add_nc_u64 s[16:17], s[20:21], s[16:17]
	s_lshl_b64 s[18:19], s[22:23], 2
	s_add_nc_u64 s[4:5], s[4:5], s[10:11]
	;; [unrolled: 2-line block ×3, first 2 shown]
	s_add_nc_u64 s[4:5], s[4:5], s[6:7]
	v_mad_u32 v1, s8, s3, v0
	s_sub_co_i32 s3, s14, s2
	s_mul_i32 s6, s13, s8
	s_mul_i32 s3, s15, s3
	;; [unrolled: 1-line block ×3, first 2 shown]
	s_add_co_i32 s2, s2, s3
	s_branch .LBB1_8
.LBB1_7:                                ;   in Loop: Header=BB1_8 Depth=1
	s_wait_xcnt 0x0
	v_add_nc_u32_e32 v1, s6, v1
	s_add_co_i32 s14, s14, s13
	s_add_co_i32 s2, s2, s7
	s_cmp_lg_u32 s12, s14
	s_cbranch_scc0 .LBB1_10
.LBB1_8:                                ; =>This Inner Loop Header: Depth=1
	s_ashr_i32 s3, s2, 31
	s_delay_alu instid0(SALU_CYCLE_1) | instskip(NEXT) | instid1(SALU_CYCLE_1)
	s_lshl_b64 s[10:11], s[2:3], 2
	s_add_nc_u64 s[10:11], s[0:1], s[10:11]
	s_delay_alu instid0(SALU_CYCLE_1)
	s_add_nc_u64 s[10:11], s[10:11], -4
	s_load_b32 s3, s[10:11], 0x0
	s_wait_kmcnt 0x0
	s_cmp_eq_u32 s14, s3
	s_cbranch_scc1 .LBB1_7
; %bb.9:                                ;   in Loop: Header=BB1_8 Depth=1
	s_add_co_i32 s3, s3, -1
	s_delay_alu instid0(SALU_CYCLE_1)
	v_mad_u32 v6, s3, s8, v0
	s_clause 0x1
	global_load_b64 v[2:3], v6, s[4:5] scale_offset
	global_load_b64 v[4:5], v1, s[4:5] scale_offset
	s_wait_loadcnt 0x1
	global_store_b64 v1, v[2:3], s[4:5] scale_offset
	s_wait_loadcnt 0x0
	global_store_b64 v6, v[4:5], s[4:5] scale_offset
	s_branch .LBB1_7
.LBB1_10:
	s_endpgm
	.section	.rodata,"a",@progbits
	.p2align	6, 0x0
	.amdhsa_kernel _ZN9rocsolver6v33100L12laswp_kernelIdiPdEEvT0_T1_lS3_S3_lS3_S3_PKS3_lS3_l
		.amdhsa_group_segment_fixed_size 0
		.amdhsa_private_segment_fixed_size 0
		.amdhsa_kernarg_size 336
		.amdhsa_user_sgpr_count 2
		.amdhsa_user_sgpr_dispatch_ptr 0
		.amdhsa_user_sgpr_queue_ptr 0
		.amdhsa_user_sgpr_kernarg_segment_ptr 1
		.amdhsa_user_sgpr_dispatch_id 0
		.amdhsa_user_sgpr_kernarg_preload_length 0
		.amdhsa_user_sgpr_kernarg_preload_offset 0
		.amdhsa_user_sgpr_private_segment_size 0
		.amdhsa_wavefront_size32 1
		.amdhsa_uses_dynamic_stack 0
		.amdhsa_enable_private_segment 0
		.amdhsa_system_sgpr_workgroup_id_x 1
		.amdhsa_system_sgpr_workgroup_id_y 1
		.amdhsa_system_sgpr_workgroup_id_z 0
		.amdhsa_system_sgpr_workgroup_info 0
		.amdhsa_system_vgpr_workitem_id 0
		.amdhsa_next_free_vgpr 7
		.amdhsa_next_free_sgpr 24
		.amdhsa_named_barrier_count 0
		.amdhsa_reserve_vcc 0
		.amdhsa_float_round_mode_32 0
		.amdhsa_float_round_mode_16_64 0
		.amdhsa_float_denorm_mode_32 3
		.amdhsa_float_denorm_mode_16_64 3
		.amdhsa_fp16_overflow 0
		.amdhsa_memory_ordered 1
		.amdhsa_forward_progress 1
		.amdhsa_inst_pref_size 4
		.amdhsa_round_robin_scheduling 0
		.amdhsa_exception_fp_ieee_invalid_op 0
		.amdhsa_exception_fp_denorm_src 0
		.amdhsa_exception_fp_ieee_div_zero 0
		.amdhsa_exception_fp_ieee_overflow 0
		.amdhsa_exception_fp_ieee_underflow 0
		.amdhsa_exception_fp_ieee_inexact 0
		.amdhsa_exception_int_div_zero 0
	.end_amdhsa_kernel
	.section	.text._ZN9rocsolver6v33100L12laswp_kernelIdiPdEEvT0_T1_lS3_S3_lS3_S3_PKS3_lS3_l,"axG",@progbits,_ZN9rocsolver6v33100L12laswp_kernelIdiPdEEvT0_T1_lS3_S3_lS3_S3_PKS3_lS3_l,comdat
.Lfunc_end1:
	.size	_ZN9rocsolver6v33100L12laswp_kernelIdiPdEEvT0_T1_lS3_S3_lS3_S3_PKS3_lS3_l, .Lfunc_end1-_ZN9rocsolver6v33100L12laswp_kernelIdiPdEEvT0_T1_lS3_S3_lS3_S3_PKS3_lS3_l
                                        ; -- End function
	.set _ZN9rocsolver6v33100L12laswp_kernelIdiPdEEvT0_T1_lS3_S3_lS3_S3_PKS3_lS3_l.num_vgpr, 7
	.set _ZN9rocsolver6v33100L12laswp_kernelIdiPdEEvT0_T1_lS3_S3_lS3_S3_PKS3_lS3_l.num_agpr, 0
	.set _ZN9rocsolver6v33100L12laswp_kernelIdiPdEEvT0_T1_lS3_S3_lS3_S3_PKS3_lS3_l.numbered_sgpr, 24
	.set _ZN9rocsolver6v33100L12laswp_kernelIdiPdEEvT0_T1_lS3_S3_lS3_S3_PKS3_lS3_l.num_named_barrier, 0
	.set _ZN9rocsolver6v33100L12laswp_kernelIdiPdEEvT0_T1_lS3_S3_lS3_S3_PKS3_lS3_l.private_seg_size, 0
	.set _ZN9rocsolver6v33100L12laswp_kernelIdiPdEEvT0_T1_lS3_S3_lS3_S3_PKS3_lS3_l.uses_vcc, 0
	.set _ZN9rocsolver6v33100L12laswp_kernelIdiPdEEvT0_T1_lS3_S3_lS3_S3_PKS3_lS3_l.uses_flat_scratch, 0
	.set _ZN9rocsolver6v33100L12laswp_kernelIdiPdEEvT0_T1_lS3_S3_lS3_S3_PKS3_lS3_l.has_dyn_sized_stack, 0
	.set _ZN9rocsolver6v33100L12laswp_kernelIdiPdEEvT0_T1_lS3_S3_lS3_S3_PKS3_lS3_l.has_recursion, 0
	.set _ZN9rocsolver6v33100L12laswp_kernelIdiPdEEvT0_T1_lS3_S3_lS3_S3_PKS3_lS3_l.has_indirect_call, 0
	.section	.AMDGPU.csdata,"",@progbits
; Kernel info:
; codeLenInByte = 504
; TotalNumSgprs: 24
; NumVgprs: 7
; ScratchSize: 0
; MemoryBound: 0
; FloatMode: 240
; IeeeMode: 1
; LDSByteSize: 0 bytes/workgroup (compile time only)
; SGPRBlocks: 0
; VGPRBlocks: 0
; NumSGPRsForWavesPerEU: 24
; NumVGPRsForWavesPerEU: 7
; NamedBarCnt: 0
; Occupancy: 16
; WaveLimiterHint : 1
; COMPUTE_PGM_RSRC2:SCRATCH_EN: 0
; COMPUTE_PGM_RSRC2:USER_SGPR: 2
; COMPUTE_PGM_RSRC2:TRAP_HANDLER: 0
; COMPUTE_PGM_RSRC2:TGID_X_EN: 1
; COMPUTE_PGM_RSRC2:TGID_Y_EN: 1
; COMPUTE_PGM_RSRC2:TGID_Z_EN: 0
; COMPUTE_PGM_RSRC2:TIDIG_COMP_CNT: 0
	.section	.text._ZN9rocsolver6v33100L12laswp_kernelI19rocblas_complex_numIfEiPS3_EEvT0_T1_lS5_S5_lS5_S5_PKS5_lS5_l,"axG",@progbits,_ZN9rocsolver6v33100L12laswp_kernelI19rocblas_complex_numIfEiPS3_EEvT0_T1_lS5_S5_lS5_S5_PKS5_lS5_l,comdat
	.globl	_ZN9rocsolver6v33100L12laswp_kernelI19rocblas_complex_numIfEiPS3_EEvT0_T1_lS5_S5_lS5_S5_PKS5_lS5_l ; -- Begin function _ZN9rocsolver6v33100L12laswp_kernelI19rocblas_complex_numIfEiPS3_EEvT0_T1_lS5_S5_lS5_S5_PKS5_lS5_l
	.p2align	8
	.type	_ZN9rocsolver6v33100L12laswp_kernelI19rocblas_complex_numIfEiPS3_EEvT0_T1_lS5_S5_lS5_S5_PKS5_lS5_l,@function
_ZN9rocsolver6v33100L12laswp_kernelI19rocblas_complex_numIfEiPS3_EEvT0_T1_lS5_S5_lS5_S5_PKS5_lS5_l: ; @_ZN9rocsolver6v33100L12laswp_kernelI19rocblas_complex_numIfEiPS3_EEvT0_T1_lS5_S5_lS5_S5_PKS5_lS5_l
; %bb.0:
	s_clause 0x1
	s_load_b32 s2, s[0:1], 0x5c
	s_load_b32 s3, s[0:1], 0x0
	s_bfe_u32 s4, ttmp6, 0x4000c
	s_and_b32 s5, ttmp6, 15
	s_add_co_i32 s4, s4, 1
	s_getreg_b32 s16, hwreg(HW_REG_IB_STS2, 6, 4)
	s_mul_i32 s4, ttmp9, s4
	s_delay_alu instid0(SALU_CYCLE_1) | instskip(SKIP_4) | instid1(SALU_CYCLE_1)
	s_add_co_i32 s5, s5, s4
	s_wait_kmcnt 0x0
	s_and_b32 s2, s2, 0xffff
	s_cmp_eq_u32 s16, 0
	s_cselect_b32 s4, ttmp9, s5
	v_mad_u32 v0, s4, s2, v0
	s_mov_b32 s2, exec_lo
	s_delay_alu instid0(VALU_DEP_1)
	v_cmpx_gt_i32_e64 s3, v0
	s_cbranch_execz .LBB2_10
; %bb.1:
	s_clause 0x1
	s_load_b32 s15, s[0:1], 0x40
	s_load_b64 s[2:3], s[0:1], 0x28
	s_wait_kmcnt 0x0
	s_cmp_gt_i32 s15, -1
	s_cbranch_scc0 .LBB2_3
; %bb.2:
	s_add_co_i32 s12, s3, 1
	s_mov_b32 s13, 1
	s_mov_b32 s14, s2
	s_cbranch_execz .LBB2_4
	s_branch .LBB2_5
.LBB2_3:
                                        ; implicit-def: $sgpr12
	s_mov_b32 s13, 1
	s_mov_b32 s14, s2
.LBB2_4:
	s_mov_b32 s13, -1
	s_add_co_i32 s12, s2, -1
	s_sub_co_i32 s15, 0, s15
	s_mov_b32 s14, s3
.LBB2_5:
	s_delay_alu instid0(SALU_CYCLE_1)
	s_cmp_eq_u32 s14, s12
	s_cbranch_scc1 .LBB2_10
; %bb.6:
	s_clause 0x2
	s_load_b256 s[4:11], s[0:1], 0x8
	s_load_b64 s[18:19], s[0:1], 0x48
	s_load_b128 s[20:23], s[0:1], 0x30
	s_wait_xcnt 0x0
	s_bfe_u32 s0, ttmp6, 0x40010
	s_bfe_u32 s1, ttmp6, 0x40004
	s_add_co_i32 s0, s0, 1
	s_delay_alu instid0(SALU_CYCLE_1) | instskip(NEXT) | instid1(SALU_CYCLE_1)
	s_mul_i32 s0, ttmp7, s0
	s_add_co_i32 s1, s1, s0
	s_cmp_eq_u32 s16, 0
	s_cselect_b32 s0, ttmp7, s1
	s_add_co_i32 s3, s14, -1
	s_ashr_i32 s1, s0, 31
	s_wait_kmcnt 0x0
	v_mul_lo_u32 v0, v0, s9
	s_mul_u64 s[16:17], s[18:19], s[0:1]
	s_mul_u64 s[0:1], s[10:11], s[0:1]
	s_lshl_b64 s[16:17], s[16:17], 2
	s_lshl_b64 s[10:11], s[0:1], 3
	;; [unrolled: 1-line block ×3, first 2 shown]
	s_add_nc_u64 s[4:5], s[4:5], s[10:11]
	s_add_nc_u64 s[16:17], s[20:21], s[16:17]
	s_lshl_b64 s[18:19], s[22:23], 2
	s_add_nc_u64 s[4:5], s[4:5], s[6:7]
	s_add_nc_u64 s[0:1], s[16:17], s[18:19]
	v_mad_u32 v1, s8, s3, v0
	s_sub_co_i32 s3, s14, s2
	s_delay_alu instid0(SALU_CYCLE_1)
	s_mul_i32 s6, s15, s3
	s_mul_i32 s3, s13, s8
	s_add_co_i32 s2, s2, s6
	s_mul_i32 s6, s15, s13
	s_branch .LBB2_8
.LBB2_7:                                ;   in Loop: Header=BB2_8 Depth=1
	s_wait_xcnt 0x1
	v_add_nc_u32_e32 v1, s3, v1
	s_add_co_i32 s14, s14, s13
	s_add_co_i32 s2, s2, s6
	s_cmp_lg_u32 s12, s14
	s_cbranch_scc0 .LBB2_10
.LBB2_8:                                ; =>This Inner Loop Header: Depth=1
	s_wait_xcnt 0x0
	v_mov_b32_e32 v2, s2
	global_load_b32 v2, v2, s[0:1] offset:-4 scale_offset
	s_wait_loadcnt 0x0
	v_cmp_eq_u32_e32 vcc_lo, s14, v2
	s_cbranch_vccnz .LBB2_7
; %bb.9:                                ;   in Loop: Header=BB2_8 Depth=1
	s_wait_xcnt 0x0
	v_add_nc_u32_e32 v2, -1, v2
	s_delay_alu instid0(VALU_DEP_1)
	v_mad_u32 v6, v2, s8, v0
	s_clause 0x1
	global_load_b64 v[2:3], v6, s[4:5] scale_offset
	global_load_b64 v[4:5], v1, s[4:5] scale_offset
	s_wait_loadcnt 0x1
	global_store_b64 v1, v[2:3], s[4:5] scale_offset
	s_wait_loadcnt 0x0
	global_store_b64 v6, v[4:5], s[4:5] scale_offset
	s_branch .LBB2_7
.LBB2_10:
	s_endpgm
	.section	.rodata,"a",@progbits
	.p2align	6, 0x0
	.amdhsa_kernel _ZN9rocsolver6v33100L12laswp_kernelI19rocblas_complex_numIfEiPS3_EEvT0_T1_lS5_S5_lS5_S5_PKS5_lS5_l
		.amdhsa_group_segment_fixed_size 0
		.amdhsa_private_segment_fixed_size 0
		.amdhsa_kernarg_size 336
		.amdhsa_user_sgpr_count 2
		.amdhsa_user_sgpr_dispatch_ptr 0
		.amdhsa_user_sgpr_queue_ptr 0
		.amdhsa_user_sgpr_kernarg_segment_ptr 1
		.amdhsa_user_sgpr_dispatch_id 0
		.amdhsa_user_sgpr_kernarg_preload_length 0
		.amdhsa_user_sgpr_kernarg_preload_offset 0
		.amdhsa_user_sgpr_private_segment_size 0
		.amdhsa_wavefront_size32 1
		.amdhsa_uses_dynamic_stack 0
		.amdhsa_enable_private_segment 0
		.amdhsa_system_sgpr_workgroup_id_x 1
		.amdhsa_system_sgpr_workgroup_id_y 1
		.amdhsa_system_sgpr_workgroup_id_z 0
		.amdhsa_system_sgpr_workgroup_info 0
		.amdhsa_system_vgpr_workitem_id 0
		.amdhsa_next_free_vgpr 7
		.amdhsa_next_free_sgpr 24
		.amdhsa_named_barrier_count 0
		.amdhsa_reserve_vcc 1
		.amdhsa_float_round_mode_32 0
		.amdhsa_float_round_mode_16_64 0
		.amdhsa_float_denorm_mode_32 3
		.amdhsa_float_denorm_mode_16_64 3
		.amdhsa_fp16_overflow 0
		.amdhsa_memory_ordered 1
		.amdhsa_forward_progress 1
		.amdhsa_inst_pref_size 4
		.amdhsa_round_robin_scheduling 0
		.amdhsa_exception_fp_ieee_invalid_op 0
		.amdhsa_exception_fp_denorm_src 0
		.amdhsa_exception_fp_ieee_div_zero 0
		.amdhsa_exception_fp_ieee_overflow 0
		.amdhsa_exception_fp_ieee_underflow 0
		.amdhsa_exception_fp_ieee_inexact 0
		.amdhsa_exception_int_div_zero 0
	.end_amdhsa_kernel
	.section	.text._ZN9rocsolver6v33100L12laswp_kernelI19rocblas_complex_numIfEiPS3_EEvT0_T1_lS5_S5_lS5_S5_PKS5_lS5_l,"axG",@progbits,_ZN9rocsolver6v33100L12laswp_kernelI19rocblas_complex_numIfEiPS3_EEvT0_T1_lS5_S5_lS5_S5_PKS5_lS5_l,comdat
.Lfunc_end2:
	.size	_ZN9rocsolver6v33100L12laswp_kernelI19rocblas_complex_numIfEiPS3_EEvT0_T1_lS5_S5_lS5_S5_PKS5_lS5_l, .Lfunc_end2-_ZN9rocsolver6v33100L12laswp_kernelI19rocblas_complex_numIfEiPS3_EEvT0_T1_lS5_S5_lS5_S5_PKS5_lS5_l
                                        ; -- End function
	.set _ZN9rocsolver6v33100L12laswp_kernelI19rocblas_complex_numIfEiPS3_EEvT0_T1_lS5_S5_lS5_S5_PKS5_lS5_l.num_vgpr, 7
	.set _ZN9rocsolver6v33100L12laswp_kernelI19rocblas_complex_numIfEiPS3_EEvT0_T1_lS5_S5_lS5_S5_PKS5_lS5_l.num_agpr, 0
	.set _ZN9rocsolver6v33100L12laswp_kernelI19rocblas_complex_numIfEiPS3_EEvT0_T1_lS5_S5_lS5_S5_PKS5_lS5_l.numbered_sgpr, 24
	.set _ZN9rocsolver6v33100L12laswp_kernelI19rocblas_complex_numIfEiPS3_EEvT0_T1_lS5_S5_lS5_S5_PKS5_lS5_l.num_named_barrier, 0
	.set _ZN9rocsolver6v33100L12laswp_kernelI19rocblas_complex_numIfEiPS3_EEvT0_T1_lS5_S5_lS5_S5_PKS5_lS5_l.private_seg_size, 0
	.set _ZN9rocsolver6v33100L12laswp_kernelI19rocblas_complex_numIfEiPS3_EEvT0_T1_lS5_S5_lS5_S5_PKS5_lS5_l.uses_vcc, 1
	.set _ZN9rocsolver6v33100L12laswp_kernelI19rocblas_complex_numIfEiPS3_EEvT0_T1_lS5_S5_lS5_S5_PKS5_lS5_l.uses_flat_scratch, 0
	.set _ZN9rocsolver6v33100L12laswp_kernelI19rocblas_complex_numIfEiPS3_EEvT0_T1_lS5_S5_lS5_S5_PKS5_lS5_l.has_dyn_sized_stack, 0
	.set _ZN9rocsolver6v33100L12laswp_kernelI19rocblas_complex_numIfEiPS3_EEvT0_T1_lS5_S5_lS5_S5_PKS5_lS5_l.has_recursion, 0
	.set _ZN9rocsolver6v33100L12laswp_kernelI19rocblas_complex_numIfEiPS3_EEvT0_T1_lS5_S5_lS5_S5_PKS5_lS5_l.has_indirect_call, 0
	.section	.AMDGPU.csdata,"",@progbits
; Kernel info:
; codeLenInByte = 500
; TotalNumSgprs: 26
; NumVgprs: 7
; ScratchSize: 0
; MemoryBound: 0
; FloatMode: 240
; IeeeMode: 1
; LDSByteSize: 0 bytes/workgroup (compile time only)
; SGPRBlocks: 0
; VGPRBlocks: 0
; NumSGPRsForWavesPerEU: 26
; NumVGPRsForWavesPerEU: 7
; NamedBarCnt: 0
; Occupancy: 16
; WaveLimiterHint : 1
; COMPUTE_PGM_RSRC2:SCRATCH_EN: 0
; COMPUTE_PGM_RSRC2:USER_SGPR: 2
; COMPUTE_PGM_RSRC2:TRAP_HANDLER: 0
; COMPUTE_PGM_RSRC2:TGID_X_EN: 1
; COMPUTE_PGM_RSRC2:TGID_Y_EN: 1
; COMPUTE_PGM_RSRC2:TGID_Z_EN: 0
; COMPUTE_PGM_RSRC2:TIDIG_COMP_CNT: 0
	.section	.text._ZN9rocsolver6v33100L12laswp_kernelI19rocblas_complex_numIdEiPS3_EEvT0_T1_lS5_S5_lS5_S5_PKS5_lS5_l,"axG",@progbits,_ZN9rocsolver6v33100L12laswp_kernelI19rocblas_complex_numIdEiPS3_EEvT0_T1_lS5_S5_lS5_S5_PKS5_lS5_l,comdat
	.globl	_ZN9rocsolver6v33100L12laswp_kernelI19rocblas_complex_numIdEiPS3_EEvT0_T1_lS5_S5_lS5_S5_PKS5_lS5_l ; -- Begin function _ZN9rocsolver6v33100L12laswp_kernelI19rocblas_complex_numIdEiPS3_EEvT0_T1_lS5_S5_lS5_S5_PKS5_lS5_l
	.p2align	8
	.type	_ZN9rocsolver6v33100L12laswp_kernelI19rocblas_complex_numIdEiPS3_EEvT0_T1_lS5_S5_lS5_S5_PKS5_lS5_l,@function
_ZN9rocsolver6v33100L12laswp_kernelI19rocblas_complex_numIdEiPS3_EEvT0_T1_lS5_S5_lS5_S5_PKS5_lS5_l: ; @_ZN9rocsolver6v33100L12laswp_kernelI19rocblas_complex_numIdEiPS3_EEvT0_T1_lS5_S5_lS5_S5_PKS5_lS5_l
; %bb.0:
	s_clause 0x1
	s_load_b32 s4, s[2:3], 0x5c
	s_load_b32 s5, s[2:3], 0x0
	s_bfe_u32 s6, ttmp6, 0x4000c
	s_and_b32 s7, ttmp6, 15
	s_add_co_i32 s6, s6, 1
	s_getreg_b32 s18, hwreg(HW_REG_IB_STS2, 6, 4)
	s_mul_i32 s6, ttmp9, s6
	v_and_b32_e32 v1, 0x3ff, v0
	s_add_co_i32 s7, s7, s6
	s_wait_kmcnt 0x0
	s_and_b32 s4, s4, 0xffff
	s_cmp_eq_u32 s18, 0
	s_cselect_b32 s6, ttmp9, s7
	s_delay_alu instid0(SALU_CYCLE_1) | instskip(SKIP_1) | instid1(VALU_DEP_1)
	v_mad_u32 v2, s6, s4, v1
	s_mov_b32 s4, exec_lo
	v_cmpx_gt_i32_e64 s5, v2
	s_cbranch_execz .LBB3_10
; %bb.1:
	s_clause 0x1
	s_load_b32 s17, s[2:3], 0x40
	s_load_b64 s[12:13], s[2:3], 0x28
	s_wait_kmcnt 0x0
	s_cmp_gt_i32 s17, -1
	s_cbranch_scc0 .LBB3_3
; %bb.2:
	s_add_co_i32 s14, s13, 1
	s_mov_b32 s15, 1
	s_mov_b32 s16, s12
	s_cbranch_execz .LBB3_4
	s_branch .LBB3_5
.LBB3_3:
                                        ; implicit-def: $sgpr14
	s_mov_b32 s15, 1
	s_mov_b32 s16, s12
.LBB3_4:
	s_mov_b32 s15, -1
	s_add_co_i32 s14, s12, -1
	s_sub_co_i32 s17, 0, s17
	s_mov_b32 s16, s13
.LBB3_5:
	s_delay_alu instid0(SALU_CYCLE_1)
	s_cmp_eq_u32 s16, s14
	s_cbranch_scc1 .LBB3_10
; %bb.6:
	s_load_b64 s[24:25], s[2:3], 0x48
	s_load_b64 s[26:27], s[0:1], 0x4
	s_clause 0x1
	s_load_b256 s[4:11], s[2:3], 0x8
	s_load_b128 s[20:23], s[2:3], 0x30
	s_wait_xcnt 0x0
	s_bfe_u32 s0, ttmp6, 0x40010
	s_bfe_u32 s1, ttmp6, 0x40004
	s_add_co_i32 s0, s0, 1
	v_bfe_u32 v3, v0, 10, 10
	s_mul_i32 s0, ttmp7, s0
	s_delay_alu instid0(SALU_CYCLE_1) | instskip(SKIP_2) | instid1(SALU_CYCLE_1)
	s_add_co_i32 s1, s1, s0
	s_cmp_eq_u32 s18, 0
	s_cselect_b32 s0, ttmp7, s1
	s_ashr_i32 s1, s0, 31
	s_wait_kmcnt 0x0
	s_mul_u64 s[2:3], s[24:25], s[0:1]
	v_mul_u32_u24_e32 v3, s27, v3
	v_mul_lo_u32 v2, v2, s9
	s_lshr_b32 s13, s26, 16
	s_mul_u64 s[0:1], s[10:11], s[0:1]
	s_mul_i32 s13, s13, s27
	s_lshl_b64 s[0:1], s[0:1], 4
	v_mad_u32 v1, s13, v1, v3
	s_add_nc_u64 s[4:5], s[4:5], s[0:1]
	s_add_co_i32 s0, s16, -1
	v_bfe_u32 v3, v0, 20, 10
	s_lshl_b64 s[2:3], s[2:3], 2
	s_lshl_b64 s[10:11], s[22:23], 2
	v_mad_u32 v0, s8, s0, v2
	s_add_nc_u64 s[2:3], s[20:21], s[2:3]
	s_lshl_b64 s[6:7], s[6:7], 4
	s_add_nc_u64 s[0:1], s[2:3], s[10:11]
	s_add_nc_u64 s[2:3], s[4:5], s[6:7]
	s_sub_co_i32 s4, s16, s12
	v_add_lshl_u32 v1, v1, v3, 4
	s_mul_i32 s5, s17, s4
	s_mul_i32 s4, s15, s8
	s_add_co_i32 s5, s12, s5
	s_mul_i32 s6, s17, s15
	s_branch .LBB3_8
.LBB3_7:                                ;   in Loop: Header=BB3_8 Depth=1
	s_wait_xcnt 0x1
	v_add_nc_u32_e32 v0, s4, v0
	s_add_co_i32 s16, s16, s15
	s_add_co_i32 s5, s5, s6
	s_cmp_lg_u32 s14, s16
	s_cbranch_scc0 .LBB3_10
.LBB3_8:                                ; =>This Inner Loop Header: Depth=1
	s_wait_xcnt 0x0
	v_mov_b32_e32 v3, s5
	global_load_b32 v3, v3, s[0:1] offset:-4 scale_offset
	s_wait_loadcnt 0x0
	v_cmp_eq_u32_e32 vcc_lo, s16, v3
	s_cbranch_vccnz .LBB3_7
; %bb.9:                                ;   in Loop: Header=BB3_8 Depth=1
	s_wait_xcnt 0x0
	v_add_nc_u32_e32 v3, -1, v3
	s_delay_alu instid0(VALU_DEP_1)
	v_mad_u32 v3, v3, s8, v2
	s_clause 0x1
	global_load_b128 v[4:7], v0, s[2:3] scale_offset
	global_load_b128 v[8:11], v3, s[2:3] scale_offset
	s_wait_loadcnt 0x1
	ds_store_2addr_b64 v1, v[4:5], v[6:7] offset1:1
	s_wait_loadcnt 0x0
	s_clause 0x1
	global_store_b128 v0, v[8:11], s[2:3] scale_offset
	global_store_b128 v3, v[4:7], s[2:3] scale_offset
	s_branch .LBB3_7
.LBB3_10:
	s_endpgm
	.section	.rodata,"a",@progbits
	.p2align	6, 0x0
	.amdhsa_kernel _ZN9rocsolver6v33100L12laswp_kernelI19rocblas_complex_numIdEiPS3_EEvT0_T1_lS5_S5_lS5_S5_PKS5_lS5_l
		.amdhsa_group_segment_fixed_size 16384
		.amdhsa_private_segment_fixed_size 0
		.amdhsa_kernarg_size 336
		.amdhsa_user_sgpr_count 4
		.amdhsa_user_sgpr_dispatch_ptr 1
		.amdhsa_user_sgpr_queue_ptr 0
		.amdhsa_user_sgpr_kernarg_segment_ptr 1
		.amdhsa_user_sgpr_dispatch_id 0
		.amdhsa_user_sgpr_kernarg_preload_length 0
		.amdhsa_user_sgpr_kernarg_preload_offset 0
		.amdhsa_user_sgpr_private_segment_size 0
		.amdhsa_wavefront_size32 1
		.amdhsa_uses_dynamic_stack 0
		.amdhsa_enable_private_segment 0
		.amdhsa_system_sgpr_workgroup_id_x 1
		.amdhsa_system_sgpr_workgroup_id_y 1
		.amdhsa_system_sgpr_workgroup_id_z 0
		.amdhsa_system_sgpr_workgroup_info 0
		.amdhsa_system_vgpr_workitem_id 2
		.amdhsa_next_free_vgpr 12
		.amdhsa_next_free_sgpr 28
		.amdhsa_named_barrier_count 0
		.amdhsa_reserve_vcc 1
		.amdhsa_float_round_mode_32 0
		.amdhsa_float_round_mode_16_64 0
		.amdhsa_float_denorm_mode_32 3
		.amdhsa_float_denorm_mode_16_64 3
		.amdhsa_fp16_overflow 0
		.amdhsa_memory_ordered 1
		.amdhsa_forward_progress 1
		.amdhsa_inst_pref_size 5
		.amdhsa_round_robin_scheduling 0
		.amdhsa_exception_fp_ieee_invalid_op 0
		.amdhsa_exception_fp_denorm_src 0
		.amdhsa_exception_fp_ieee_div_zero 0
		.amdhsa_exception_fp_ieee_overflow 0
		.amdhsa_exception_fp_ieee_underflow 0
		.amdhsa_exception_fp_ieee_inexact 0
		.amdhsa_exception_int_div_zero 0
	.end_amdhsa_kernel
	.section	.text._ZN9rocsolver6v33100L12laswp_kernelI19rocblas_complex_numIdEiPS3_EEvT0_T1_lS5_S5_lS5_S5_PKS5_lS5_l,"axG",@progbits,_ZN9rocsolver6v33100L12laswp_kernelI19rocblas_complex_numIdEiPS3_EEvT0_T1_lS5_S5_lS5_S5_PKS5_lS5_l,comdat
.Lfunc_end3:
	.size	_ZN9rocsolver6v33100L12laswp_kernelI19rocblas_complex_numIdEiPS3_EEvT0_T1_lS5_S5_lS5_S5_PKS5_lS5_l, .Lfunc_end3-_ZN9rocsolver6v33100L12laswp_kernelI19rocblas_complex_numIdEiPS3_EEvT0_T1_lS5_S5_lS5_S5_PKS5_lS5_l
                                        ; -- End function
	.set _ZN9rocsolver6v33100L12laswp_kernelI19rocblas_complex_numIdEiPS3_EEvT0_T1_lS5_S5_lS5_S5_PKS5_lS5_l.num_vgpr, 12
	.set _ZN9rocsolver6v33100L12laswp_kernelI19rocblas_complex_numIdEiPS3_EEvT0_T1_lS5_S5_lS5_S5_PKS5_lS5_l.num_agpr, 0
	.set _ZN9rocsolver6v33100L12laswp_kernelI19rocblas_complex_numIdEiPS3_EEvT0_T1_lS5_S5_lS5_S5_PKS5_lS5_l.numbered_sgpr, 28
	.set _ZN9rocsolver6v33100L12laswp_kernelI19rocblas_complex_numIdEiPS3_EEvT0_T1_lS5_S5_lS5_S5_PKS5_lS5_l.num_named_barrier, 0
	.set _ZN9rocsolver6v33100L12laswp_kernelI19rocblas_complex_numIdEiPS3_EEvT0_T1_lS5_S5_lS5_S5_PKS5_lS5_l.private_seg_size, 0
	.set _ZN9rocsolver6v33100L12laswp_kernelI19rocblas_complex_numIdEiPS3_EEvT0_T1_lS5_S5_lS5_S5_PKS5_lS5_l.uses_vcc, 1
	.set _ZN9rocsolver6v33100L12laswp_kernelI19rocblas_complex_numIdEiPS3_EEvT0_T1_lS5_S5_lS5_S5_PKS5_lS5_l.uses_flat_scratch, 0
	.set _ZN9rocsolver6v33100L12laswp_kernelI19rocblas_complex_numIdEiPS3_EEvT0_T1_lS5_S5_lS5_S5_PKS5_lS5_l.has_dyn_sized_stack, 0
	.set _ZN9rocsolver6v33100L12laswp_kernelI19rocblas_complex_numIdEiPS3_EEvT0_T1_lS5_S5_lS5_S5_PKS5_lS5_l.has_recursion, 0
	.set _ZN9rocsolver6v33100L12laswp_kernelI19rocblas_complex_numIdEiPS3_EEvT0_T1_lS5_S5_lS5_S5_PKS5_lS5_l.has_indirect_call, 0
	.section	.AMDGPU.csdata,"",@progbits
; Kernel info:
; codeLenInByte = 564
; TotalNumSgprs: 30
; NumVgprs: 12
; ScratchSize: 0
; MemoryBound: 0
; FloatMode: 240
; IeeeMode: 1
; LDSByteSize: 16384 bytes/workgroup (compile time only)
; SGPRBlocks: 0
; VGPRBlocks: 0
; NumSGPRsForWavesPerEU: 30
; NumVGPRsForWavesPerEU: 12
; NamedBarCnt: 0
; Occupancy: 16
; WaveLimiterHint : 1
; COMPUTE_PGM_RSRC2:SCRATCH_EN: 0
; COMPUTE_PGM_RSRC2:USER_SGPR: 4
; COMPUTE_PGM_RSRC2:TRAP_HANDLER: 0
; COMPUTE_PGM_RSRC2:TGID_X_EN: 1
; COMPUTE_PGM_RSRC2:TGID_Y_EN: 1
; COMPUTE_PGM_RSRC2:TGID_Z_EN: 0
; COMPUTE_PGM_RSRC2:TIDIG_COMP_CNT: 2
	.section	.AMDGPU.gpr_maximums,"",@progbits
	.set amdgpu.max_num_vgpr, 0
	.set amdgpu.max_num_agpr, 0
	.set amdgpu.max_num_sgpr, 0
	.section	.AMDGPU.csdata,"",@progbits
	.type	__hip_cuid_5ba6b264bb6c7f7a,@object ; @__hip_cuid_5ba6b264bb6c7f7a
	.section	.bss,"aw",@nobits
	.globl	__hip_cuid_5ba6b264bb6c7f7a
__hip_cuid_5ba6b264bb6c7f7a:
	.byte	0                               ; 0x0
	.size	__hip_cuid_5ba6b264bb6c7f7a, 1

	.ident	"AMD clang version 22.0.0git (https://github.com/RadeonOpenCompute/llvm-project roc-7.2.4 26084 f58b06dce1f9c15707c5f808fd002e18c2accf7e)"
	.section	".note.GNU-stack","",@progbits
	.addrsig
	.addrsig_sym __hip_cuid_5ba6b264bb6c7f7a
	.amdgpu_metadata
---
amdhsa.kernels:
  - .args:
      - .offset:         0
        .size:           4
        .value_kind:     by_value
      - .address_space:  global
        .offset:         8
        .size:           8
        .value_kind:     global_buffer
      - .offset:         16
        .size:           8
        .value_kind:     by_value
      - .offset:         24
        .size:           4
        .value_kind:     by_value
      - .offset:         28
        .size:           4
        .value_kind:     by_value
      - .offset:         32
        .size:           8
        .value_kind:     by_value
      - .offset:         40
        .size:           4
        .value_kind:     by_value
      - .offset:         44
        .size:           4
        .value_kind:     by_value
      - .address_space:  global
        .offset:         48
        .size:           8
        .value_kind:     global_buffer
      - .offset:         56
        .size:           8
        .value_kind:     by_value
      - .offset:         64
        .size:           4
        .value_kind:     by_value
      - .offset:         72
        .size:           8
        .value_kind:     by_value
      - .offset:         80
        .size:           4
        .value_kind:     hidden_block_count_x
      - .offset:         84
        .size:           4
        .value_kind:     hidden_block_count_y
      - .offset:         88
        .size:           4
        .value_kind:     hidden_block_count_z
      - .offset:         92
        .size:           2
        .value_kind:     hidden_group_size_x
      - .offset:         94
        .size:           2
        .value_kind:     hidden_group_size_y
      - .offset:         96
        .size:           2
        .value_kind:     hidden_group_size_z
      - .offset:         98
        .size:           2
        .value_kind:     hidden_remainder_x
      - .offset:         100
        .size:           2
        .value_kind:     hidden_remainder_y
      - .offset:         102
        .size:           2
        .value_kind:     hidden_remainder_z
      - .offset:         120
        .size:           8
        .value_kind:     hidden_global_offset_x
      - .offset:         128
        .size:           8
        .value_kind:     hidden_global_offset_y
      - .offset:         136
        .size:           8
        .value_kind:     hidden_global_offset_z
      - .offset:         144
        .size:           2
        .value_kind:     hidden_grid_dims
    .group_segment_fixed_size: 0
    .kernarg_segment_align: 8
    .kernarg_segment_size: 336
    .language:       OpenCL C
    .language_version:
      - 2
      - 0
    .max_flat_workgroup_size: 1024
    .name:           _ZN9rocsolver6v33100L12laswp_kernelIfiPfEEvT0_T1_lS3_S3_lS3_S3_PKS3_lS3_l
    .private_segment_fixed_size: 0
    .sgpr_count:     24
    .sgpr_spill_count: 0
    .symbol:         _ZN9rocsolver6v33100L12laswp_kernelIfiPfEEvT0_T1_lS3_S3_lS3_S3_PKS3_lS3_l.kd
    .uniform_work_group_size: 1
    .uses_dynamic_stack: false
    .vgpr_count:     5
    .vgpr_spill_count: 0
    .wavefront_size: 32
  - .args:
      - .offset:         0
        .size:           4
        .value_kind:     by_value
      - .address_space:  global
        .offset:         8
        .size:           8
        .value_kind:     global_buffer
      - .offset:         16
        .size:           8
        .value_kind:     by_value
      - .offset:         24
        .size:           4
        .value_kind:     by_value
      - .offset:         28
        .size:           4
        .value_kind:     by_value
      - .offset:         32
        .size:           8
        .value_kind:     by_value
      - .offset:         40
        .size:           4
        .value_kind:     by_value
      - .offset:         44
        .size:           4
        .value_kind:     by_value
      - .address_space:  global
        .offset:         48
        .size:           8
        .value_kind:     global_buffer
      - .offset:         56
        .size:           8
        .value_kind:     by_value
      - .offset:         64
        .size:           4
        .value_kind:     by_value
      - .offset:         72
        .size:           8
        .value_kind:     by_value
      - .offset:         80
        .size:           4
        .value_kind:     hidden_block_count_x
      - .offset:         84
        .size:           4
        .value_kind:     hidden_block_count_y
      - .offset:         88
        .size:           4
        .value_kind:     hidden_block_count_z
      - .offset:         92
        .size:           2
        .value_kind:     hidden_group_size_x
      - .offset:         94
        .size:           2
        .value_kind:     hidden_group_size_y
      - .offset:         96
        .size:           2
        .value_kind:     hidden_group_size_z
      - .offset:         98
        .size:           2
        .value_kind:     hidden_remainder_x
      - .offset:         100
        .size:           2
        .value_kind:     hidden_remainder_y
      - .offset:         102
        .size:           2
        .value_kind:     hidden_remainder_z
      - .offset:         120
        .size:           8
        .value_kind:     hidden_global_offset_x
      - .offset:         128
        .size:           8
        .value_kind:     hidden_global_offset_y
      - .offset:         136
        .size:           8
        .value_kind:     hidden_global_offset_z
      - .offset:         144
        .size:           2
        .value_kind:     hidden_grid_dims
    .group_segment_fixed_size: 0
    .kernarg_segment_align: 8
    .kernarg_segment_size: 336
    .language:       OpenCL C
    .language_version:
      - 2
      - 0
    .max_flat_workgroup_size: 1024
    .name:           _ZN9rocsolver6v33100L12laswp_kernelIdiPdEEvT0_T1_lS3_S3_lS3_S3_PKS3_lS3_l
    .private_segment_fixed_size: 0
    .sgpr_count:     24
    .sgpr_spill_count: 0
    .symbol:         _ZN9rocsolver6v33100L12laswp_kernelIdiPdEEvT0_T1_lS3_S3_lS3_S3_PKS3_lS3_l.kd
    .uniform_work_group_size: 1
    .uses_dynamic_stack: false
    .vgpr_count:     7
    .vgpr_spill_count: 0
    .wavefront_size: 32
  - .args:
      - .offset:         0
        .size:           4
        .value_kind:     by_value
      - .address_space:  global
        .offset:         8
        .size:           8
        .value_kind:     global_buffer
      - .offset:         16
        .size:           8
        .value_kind:     by_value
      - .offset:         24
        .size:           4
        .value_kind:     by_value
      - .offset:         28
        .size:           4
        .value_kind:     by_value
      - .offset:         32
        .size:           8
        .value_kind:     by_value
      - .offset:         40
        .size:           4
        .value_kind:     by_value
      - .offset:         44
        .size:           4
        .value_kind:     by_value
      - .address_space:  global
        .offset:         48
        .size:           8
        .value_kind:     global_buffer
      - .offset:         56
        .size:           8
        .value_kind:     by_value
      - .offset:         64
        .size:           4
        .value_kind:     by_value
      - .offset:         72
        .size:           8
        .value_kind:     by_value
      - .offset:         80
        .size:           4
        .value_kind:     hidden_block_count_x
      - .offset:         84
        .size:           4
        .value_kind:     hidden_block_count_y
      - .offset:         88
        .size:           4
        .value_kind:     hidden_block_count_z
      - .offset:         92
        .size:           2
        .value_kind:     hidden_group_size_x
      - .offset:         94
        .size:           2
        .value_kind:     hidden_group_size_y
      - .offset:         96
        .size:           2
        .value_kind:     hidden_group_size_z
      - .offset:         98
        .size:           2
        .value_kind:     hidden_remainder_x
      - .offset:         100
        .size:           2
        .value_kind:     hidden_remainder_y
      - .offset:         102
        .size:           2
        .value_kind:     hidden_remainder_z
      - .offset:         120
        .size:           8
        .value_kind:     hidden_global_offset_x
      - .offset:         128
        .size:           8
        .value_kind:     hidden_global_offset_y
      - .offset:         136
        .size:           8
        .value_kind:     hidden_global_offset_z
      - .offset:         144
        .size:           2
        .value_kind:     hidden_grid_dims
    .group_segment_fixed_size: 0
    .kernarg_segment_align: 8
    .kernarg_segment_size: 336
    .language:       OpenCL C
    .language_version:
      - 2
      - 0
    .max_flat_workgroup_size: 1024
    .name:           _ZN9rocsolver6v33100L12laswp_kernelI19rocblas_complex_numIfEiPS3_EEvT0_T1_lS5_S5_lS5_S5_PKS5_lS5_l
    .private_segment_fixed_size: 0
    .sgpr_count:     26
    .sgpr_spill_count: 0
    .symbol:         _ZN9rocsolver6v33100L12laswp_kernelI19rocblas_complex_numIfEiPS3_EEvT0_T1_lS5_S5_lS5_S5_PKS5_lS5_l.kd
    .uniform_work_group_size: 1
    .uses_dynamic_stack: false
    .vgpr_count:     7
    .vgpr_spill_count: 0
    .wavefront_size: 32
  - .args:
      - .offset:         0
        .size:           4
        .value_kind:     by_value
      - .address_space:  global
        .offset:         8
        .size:           8
        .value_kind:     global_buffer
      - .offset:         16
        .size:           8
        .value_kind:     by_value
      - .offset:         24
        .size:           4
        .value_kind:     by_value
      - .offset:         28
        .size:           4
        .value_kind:     by_value
      - .offset:         32
        .size:           8
        .value_kind:     by_value
      - .offset:         40
        .size:           4
        .value_kind:     by_value
      - .offset:         44
        .size:           4
        .value_kind:     by_value
      - .address_space:  global
        .offset:         48
        .size:           8
        .value_kind:     global_buffer
      - .offset:         56
        .size:           8
        .value_kind:     by_value
      - .offset:         64
        .size:           4
        .value_kind:     by_value
      - .offset:         72
        .size:           8
        .value_kind:     by_value
      - .offset:         80
        .size:           4
        .value_kind:     hidden_block_count_x
      - .offset:         84
        .size:           4
        .value_kind:     hidden_block_count_y
      - .offset:         88
        .size:           4
        .value_kind:     hidden_block_count_z
      - .offset:         92
        .size:           2
        .value_kind:     hidden_group_size_x
      - .offset:         94
        .size:           2
        .value_kind:     hidden_group_size_y
      - .offset:         96
        .size:           2
        .value_kind:     hidden_group_size_z
      - .offset:         98
        .size:           2
        .value_kind:     hidden_remainder_x
      - .offset:         100
        .size:           2
        .value_kind:     hidden_remainder_y
      - .offset:         102
        .size:           2
        .value_kind:     hidden_remainder_z
      - .offset:         120
        .size:           8
        .value_kind:     hidden_global_offset_x
      - .offset:         128
        .size:           8
        .value_kind:     hidden_global_offset_y
      - .offset:         136
        .size:           8
        .value_kind:     hidden_global_offset_z
      - .offset:         144
        .size:           2
        .value_kind:     hidden_grid_dims
    .group_segment_fixed_size: 16384
    .kernarg_segment_align: 8
    .kernarg_segment_size: 336
    .language:       OpenCL C
    .language_version:
      - 2
      - 0
    .max_flat_workgroup_size: 1024
    .name:           _ZN9rocsolver6v33100L12laswp_kernelI19rocblas_complex_numIdEiPS3_EEvT0_T1_lS5_S5_lS5_S5_PKS5_lS5_l
    .private_segment_fixed_size: 0
    .sgpr_count:     30
    .sgpr_spill_count: 0
    .symbol:         _ZN9rocsolver6v33100L12laswp_kernelI19rocblas_complex_numIdEiPS3_EEvT0_T1_lS5_S5_lS5_S5_PKS5_lS5_l.kd
    .uniform_work_group_size: 1
    .uses_dynamic_stack: false
    .vgpr_count:     12
    .vgpr_spill_count: 0
    .wavefront_size: 32
amdhsa.target:   amdgcn-amd-amdhsa--gfx1250
amdhsa.version:
  - 1
  - 2
...

	.end_amdgpu_metadata
